;; amdgpu-corpus repo=ROCm/rocm-examples kind=compiled arch=gfx1250 opt=O3
	.amdgcn_target "amdgcn-amd-amdhsa--gfx1250"
	.amdhsa_code_object_version 6
	.text
	.protected	_Z18histogram256_blockPhPji ; -- Begin function _Z18histogram256_blockPhPji
	.globl	_Z18histogram256_blockPhPji
	.p2align	8
	.type	_Z18histogram256_blockPhPji,@function
_Z18histogram256_blockPhPji:            ; @_Z18histogram256_blockPhPji
; %bb.0:
	s_clause 0x1
	s_load_b32 s2, s[0:1], 0x24
	s_load_b32 s5, s[0:1], 0x10
	s_getreg_b32 s3, hwreg(HW_REG_IB_STS2, 6, 4)
	s_mov_b32 s8, 0
	s_delay_alu instid0(SALU_CYCLE_1)
	s_mov_b32 s9, s8
	s_mov_b32 s10, s8
	;; [unrolled: 1-line block ×3, first 2 shown]
	v_mov_b64_e32 v[4:5], s[8:9]
	v_mov_b64_e32 v[6:7], s[10:11]
	s_wait_kmcnt 0x0
	s_and_b32 s4, s2, 0xffff
	s_delay_alu instid0(SALU_CYCLE_1) | instskip(NEXT) | instid1(SALU_CYCLE_1)
	s_ctz_i32_b32 s2, s4
	s_add_co_i32 s2, s2, -2
	s_cmp_lg_u32 s4, 0
	s_cselect_b32 s2, s2, -3
	s_and_b32 s6, ttmp6, 15
	v_bfe_u32 v1, v0, 0, s2
	v_lshrrev_b32_e32 v2, s2, v0
	s_bfe_u32 s2, ttmp6, 0x4000c
	s_delay_alu instid0(SALU_CYCLE_1) | instskip(NEXT) | instid1(SALU_CYCLE_1)
	s_add_co_i32 s2, s2, 1
	s_mul_i32 s2, ttmp9, s2
	s_delay_alu instid0(VALU_DEP_1)
	v_lshl_or_b32 v2, v1, 2, v2
	s_add_co_i32 s6, s6, s2
	s_cmp_eq_u32 s3, 0
	s_load_b128 s[0:3], s[0:1], 0x0
	s_cselect_b32 s6, ttmp9, s6
	v_lshl_add_u32 v1, v2, 8, 0
	s_cmp_lt_i32 s5, 1
	ds_store_b128 v1, v[4:7]
	ds_store_b128 v1, v[4:7] offset:16
	ds_store_b128 v1, v[4:7] offset:32
	;; [unrolled: 1-line block ×15, first 2 shown]
	s_wait_dscnt 0x0
	s_barrier_signal -1
	s_barrier_wait -1
	s_cbranch_scc1 .LBB0_3
; %bb.1:
	v_mad_u32 v0, s6, s4, v0
	v_add_nc_u32_e32 v3, 0, v2
	s_delay_alu instid0(VALU_DEP_2) | instskip(NEXT) | instid1(VALU_DEP_1)
	v_mul_lo_u32 v0, v0, s5
	v_ashrrev_i32_e32 v1, 31, v0
	s_wait_kmcnt 0x0
	s_delay_alu instid0(VALU_DEP_1)
	v_add_nc_u64_e32 v[0:1], s[0:1], v[0:1]
.LBB0_2:                                ; =>This Inner Loop Header: Depth=1
	global_load_u8 v4, v[0:1], off
	s_wait_xcnt 0x0
	v_add_nc_u64_e32 v[0:1], 1, v[0:1]
	s_add_co_i32 s5, s5, -1
	s_delay_alu instid0(SALU_CYCLE_1)
	s_cmp_eq_u32 s5, 0
	s_wait_loadcnt 0x0
	v_mad_u32_u24 v4, v4, s4, v3
	ds_load_u8 v5, v4
	s_wait_dscnt 0x0
	v_add_nc_u16 v5, v5, 1
	ds_store_b8 v4, v5
	s_cbranch_scc0 .LBB0_2
.LBB0_3:
	s_cmp_gt_u32 s4, 0x100
	s_wait_dscnt 0x0
	s_barrier_signal -1
	s_barrier_wait -1
	s_cbranch_scc1 .LBB0_28
; %bb.4:
	s_wait_kmcnt 0x0
	s_cvt_f32_u32 s0, s4
	s_delay_alu instid0(SALU_CYCLE_3) | instskip(SKIP_1) | instid1(TRANS32_DEP_1)
	v_rcp_iflag_f32_e32 v0, s0
	v_nop
	v_readfirstlane_b32 s1, v0
	s_mul_f32 s1, s1, 0x43800000
	s_delay_alu instid0(SALU_CYCLE_3) | instskip(NEXT) | instid1(SALU_CYCLE_3)
	s_trunc_f32 s1, s1
	s_xor_b32 s5, s1, 0x80000000
	s_delay_alu instid0(SALU_CYCLE_1) | instskip(NEXT) | instid1(SALU_CYCLE_3)
	s_fmaak_f32 s5, s5, s0, 0x43800000
	s_bitset0_b32 s5, 31
	s_delay_alu instid0(SALU_CYCLE_1) | instskip(SKIP_2) | instid1(SALU_CYCLE_1)
	s_cmp_ge_f32 s5, s0
	s_cvt_u32_f32 s0, s1
	s_cselect_b32 s1, -1, 0
	s_cmp_lg_u32 s1, 0
	s_delay_alu instid0(SALU_CYCLE_1)
	s_add_co_ci_u32 s0, s0, 0
	s_lshl_b32 s1, s6, 8
	s_and_b32 s5, s0, 0xffff
	s_mov_b32 s6, 0
	s_cmp_eq_u32 s5, 1
	s_cbranch_scc1 .LBB0_19
; %bb.5:
	s_and_b32 s6, s5, 0x1fe
	s_cmp_gt_u32 s4, 1
	v_add_nc_u32_e32 v1, s4, v2
	s_cselect_b32 s0, -1, 0
	s_and_b32 s7, s4, 0x1fe
	v_cndmask_b32_e64 v3, 0, 1, s0
	v_mad_u32_u24 v0, v2, s4, 0
	v_mad_u32_u24 v1, v1, s4, 0
	s_cmp_lg_u32 s7, s4
	s_mul_i32 s10, s4, s4
	v_cmp_ne_u32_e64 s0, 1, v3
	s_cselect_b32 s8, -1, 0
	s_mov_b32 s9, 0
	s_lshl_b32 s10, s10, 1
	s_branch .LBB0_7
.LBB0_6:                                ;   in Loop: Header=BB0_7 Depth=1
	v_add3_u32 v3, s1, s4, v3
	v_dual_add_nc_u32 v0, s10, v0 :: v_dual_add_nc_u32 v1, s10, v1
	s_add_co_i32 s9, s9, 2
	s_delay_alu instid0(SALU_CYCLE_1)
	s_cmp_eq_u32 s9, s6
	global_store_b32 v3, v4, s[2:3] scale_offset
	s_cbranch_scc1 .LBB0_19
.LBB0_7:                                ; =>This Loop Header: Depth=1
                                        ;     Child Loop BB0_9 Depth 2
                                        ;     Child Loop BB0_12 Depth 2
                                        ;     Child Loop BB0_15 Depth 2
                                        ;     Child Loop BB0_18 Depth 2
	s_and_b32 vcc_lo, exec_lo, s0
	s_cbranch_vccnz .LBB0_11
; %bb.8:                                ;   in Loop: Header=BB0_7 Depth=1
	s_wait_xcnt 0x0
	v_dual_mov_b32 v3, 0 :: v_dual_mov_b32 v4, v0
	v_mov_b32_e32 v5, 0
	s_mov_b32 s11, s7
.LBB0_9:                                ;   Parent Loop BB0_7 Depth=1
                                        ; =>  This Inner Loop Header: Depth=2
	ds_load_u16 v6, v4
	s_add_co_i32 s11, s11, -2
	s_delay_alu instid0(SALU_CYCLE_1) | instskip(SKIP_4) | instid1(VALU_DEP_3)
	s_cmp_lg_u32 s11, 0
	s_wait_dscnt 0x0
	v_lshrrev_b16 v7, 8, v6
	v_and_b32_e32 v6, 0xff, v6
	v_add_nc_u32_e32 v4, 2, v4
	v_and_b32_e32 v7, 0xffff, v7
	s_delay_alu instid0(VALU_DEP_1)
	v_dual_add_nc_u32 v3, v3, v6 :: v_dual_add_nc_u32 v5, v5, v7
	s_cbranch_scc1 .LBB0_9
; %bb.10:                               ;   in Loop: Header=BB0_7 Depth=1
	s_delay_alu instid0(VALU_DEP_1) | instskip(SKIP_2) | instid1(SALU_CYCLE_1)
	v_add_nc_u32_e32 v4, v3, v5
	s_mov_b32 s11, s7
	s_mov_b32 s12, s8
	s_and_b32 vcc_lo, exec_lo, s12
	s_cbranch_vccnz .LBB0_12
	s_branch .LBB0_13
.LBB0_11:                               ;   in Loop: Header=BB0_7 Depth=1
	s_wait_xcnt 0x0
	v_mov_b32_e32 v4, 0
	s_mov_b32 s11, 0
	s_cbranch_execz .LBB0_13
.LBB0_12:                               ;   Parent Loop BB0_7 Depth=1
                                        ; =>  This Inner Loop Header: Depth=2
	v_add_nc_u32_e32 v3, s11, v0
	s_add_co_i32 s11, s11, 1
	s_delay_alu instid0(SALU_CYCLE_1)
	s_cmp_eq_u32 s4, s11
	ds_load_u8 v3, v3
	s_wait_dscnt 0x0
	v_add_nc_u32_e32 v4, v4, v3
	s_cbranch_scc0 .LBB0_12
.LBB0_13:                               ;   in Loop: Header=BB0_7 Depth=1
	v_mad_u32 v3, s9, s4, v2
	s_and_b32 vcc_lo, exec_lo, s0
	s_delay_alu instid0(VALU_DEP_1)
	v_add_nc_u32_e32 v5, s1, v3
	global_store_b32 v5, v4, s[2:3] scale_offset
	s_wait_xcnt 0x0
	v_mov_b32_e32 v4, 0
	s_cbranch_vccnz .LBB0_17
; %bb.14:                               ;   in Loop: Header=BB0_7 Depth=1
	v_dual_mov_b32 v5, v1 :: v_dual_mov_b32 v6, 0
	s_mov_b32 s11, s7
.LBB0_15:                               ;   Parent Loop BB0_7 Depth=1
                                        ; =>  This Inner Loop Header: Depth=2
	ds_load_u16 v7, v5
	s_add_co_i32 s11, s11, -2
	s_delay_alu instid0(SALU_CYCLE_1) | instskip(SKIP_4) | instid1(VALU_DEP_3)
	s_cmp_lg_u32 s11, 0
	s_wait_dscnt 0x0
	v_lshrrev_b16 v8, 8, v7
	v_and_b32_e32 v7, 0xff, v7
	v_add_nc_u32_e32 v5, 2, v5
	v_and_b32_e32 v8, 0xffff, v8
	s_delay_alu instid0(VALU_DEP_1)
	v_dual_add_nc_u32 v4, v4, v7 :: v_dual_add_nc_u32 v6, v6, v8
	s_cbranch_scc1 .LBB0_15
; %bb.16:                               ;   in Loop: Header=BB0_7 Depth=1
	s_delay_alu instid0(VALU_DEP_1) | instskip(SKIP_2) | instid1(SALU_CYCLE_1)
	v_add_nc_u32_e32 v4, v4, v6
	s_mov_b32 s11, s7
	s_mov_b32 s12, s8
	s_and_b32 vcc_lo, exec_lo, s12
	s_cbranch_vccnz .LBB0_18
	s_branch .LBB0_6
.LBB0_17:                               ;   in Loop: Header=BB0_7 Depth=1
	s_mov_b32 s11, 0
	s_cbranch_execz .LBB0_6
.LBB0_18:                               ;   Parent Loop BB0_7 Depth=1
                                        ; =>  This Inner Loop Header: Depth=2
	v_add_nc_u32_e32 v5, s11, v1
	s_add_co_i32 s11, s11, 1
	s_delay_alu instid0(SALU_CYCLE_1)
	s_cmp_lg_u32 s4, s11
	ds_load_u8 v5, v5
	s_wait_dscnt 0x0
	v_add_nc_u32_e32 v4, v4, v5
	s_cbranch_scc1 .LBB0_18
	s_branch .LBB0_6
.LBB0_19:
	s_bitcmp0_b32 s5, 0
	s_mov_b32 s0, 0
	s_cbranch_scc1 .LBB0_28
; %bb.20:
	v_mad_u32 v0, s6, s4, v2
	s_cmp_lt_u32 s4, 2
	s_delay_alu instid0(VALU_DEP_1)
	v_mul_lo_u32 v1, v0, s4
	s_cbranch_scc1 .LBB0_24
; %bb.21:
	s_wait_xcnt 0x0
	s_delay_alu instid0(VALU_DEP_1) | instskip(SKIP_2) | instid1(SALU_CYCLE_1)
	v_dual_mov_b32 v3, 0 :: v_dual_add_nc_u32 v2, 0, v1
	v_mov_b32_e32 v4, 0
	s_and_b32 s0, s4, 0x1fe
	s_mov_b32 s5, s0
.LBB0_22:                               ; =>This Inner Loop Header: Depth=1
	ds_load_u16 v5, v2
	s_add_co_i32 s5, s5, -2
	s_delay_alu instid0(SALU_CYCLE_1) | instskip(SKIP_4) | instid1(VALU_DEP_3)
	s_cmp_lg_u32 s5, 0
	s_wait_dscnt 0x0
	v_lshrrev_b16 v6, 8, v5
	v_and_b32_e32 v5, 0xff, v5
	v_add_nc_u32_e32 v2, 2, v2
	v_and_b32_e32 v6, 0xffff, v6
	s_delay_alu instid0(VALU_DEP_1)
	v_dual_add_nc_u32 v3, v3, v5 :: v_dual_add_nc_u32 v4, v4, v6
	s_cbranch_scc1 .LBB0_22
; %bb.23:
	s_cmp_lg_u32 s0, s4
	s_delay_alu instid0(VALU_DEP_1) | instskip(SKIP_1) | instid1(SALU_CYCLE_1)
	v_add_nc_u32_e32 v2, v3, v4
	s_cselect_b32 s5, -1, 0
	s_and_b32 vcc_lo, exec_lo, s5
	s_cbranch_vccnz .LBB0_25
	s_branch .LBB0_27
.LBB0_24:
	v_mov_b32_e32 v2, 0
	s_cbranch_execz .LBB0_27
.LBB0_25:
	s_delay_alu instid0(VALU_DEP_2)
	v_add3_u32 v1, 0, s0, v1
	s_sub_co_i32 s0, s4, s0
.LBB0_26:                               ; =>This Inner Loop Header: Depth=1
	s_wait_xcnt 0x0
	ds_load_u8 v3, v1
	v_add_nc_u32_e32 v1, 1, v1
	s_add_co_i32 s0, s0, -1
	s_delay_alu instid0(SALU_CYCLE_1)
	s_cmp_lg_u32 s0, 0
	s_wait_dscnt 0x0
	v_add_nc_u32_e32 v2, v2, v3
	s_cbranch_scc1 .LBB0_26
.LBB0_27:
	v_add_nc_u32_e32 v0, s1, v0
	global_store_b32 v0, v2, s[2:3] scale_offset
.LBB0_28:
	s_endpgm
	.section	.rodata,"a",@progbits
	.p2align	6, 0x0
	.amdhsa_kernel _Z18histogram256_blockPhPji
		.amdhsa_group_segment_fixed_size 0
		.amdhsa_private_segment_fixed_size 0
		.amdhsa_kernarg_size 280
		.amdhsa_user_sgpr_count 2
		.amdhsa_user_sgpr_dispatch_ptr 0
		.amdhsa_user_sgpr_queue_ptr 0
		.amdhsa_user_sgpr_kernarg_segment_ptr 1
		.amdhsa_user_sgpr_dispatch_id 0
		.amdhsa_user_sgpr_kernarg_preload_length 0
		.amdhsa_user_sgpr_kernarg_preload_offset 0
		.amdhsa_user_sgpr_private_segment_size 0
		.amdhsa_wavefront_size32 1
		.amdhsa_uses_dynamic_stack 0
		.amdhsa_enable_private_segment 0
		.amdhsa_system_sgpr_workgroup_id_x 1
		.amdhsa_system_sgpr_workgroup_id_y 0
		.amdhsa_system_sgpr_workgroup_id_z 0
		.amdhsa_system_sgpr_workgroup_info 0
		.amdhsa_system_vgpr_workitem_id 0
		.amdhsa_next_free_vgpr 9
		.amdhsa_next_free_sgpr 13
		.amdhsa_named_barrier_count 0
		.amdhsa_reserve_vcc 1
		.amdhsa_float_round_mode_32 0
		.amdhsa_float_round_mode_16_64 0
		.amdhsa_float_denorm_mode_32 3
		.amdhsa_float_denorm_mode_16_64 3
		.amdhsa_fp16_overflow 0
		.amdhsa_memory_ordered 1
		.amdhsa_forward_progress 1
		.amdhsa_inst_pref_size 11
		.amdhsa_round_robin_scheduling 0
		.amdhsa_exception_fp_ieee_invalid_op 0
		.amdhsa_exception_fp_denorm_src 0
		.amdhsa_exception_fp_ieee_div_zero 0
		.amdhsa_exception_fp_ieee_overflow 0
		.amdhsa_exception_fp_ieee_underflow 0
		.amdhsa_exception_fp_ieee_inexact 0
		.amdhsa_exception_int_div_zero 0
	.end_amdhsa_kernel
	.text
.Lfunc_end0:
	.size	_Z18histogram256_blockPhPji, .Lfunc_end0-_Z18histogram256_blockPhPji
                                        ; -- End function
	.set _Z18histogram256_blockPhPji.num_vgpr, 9
	.set _Z18histogram256_blockPhPji.num_agpr, 0
	.set _Z18histogram256_blockPhPji.numbered_sgpr, 13
	.set _Z18histogram256_blockPhPji.num_named_barrier, 0
	.set _Z18histogram256_blockPhPji.private_seg_size, 0
	.set _Z18histogram256_blockPhPji.uses_vcc, 1
	.set _Z18histogram256_blockPhPji.uses_flat_scratch, 0
	.set _Z18histogram256_blockPhPji.has_dyn_sized_stack, 0
	.set _Z18histogram256_blockPhPji.has_recursion, 0
	.set _Z18histogram256_blockPhPji.has_indirect_call, 0
	.section	.AMDGPU.csdata,"",@progbits
; Kernel info:
; codeLenInByte = 1336
; TotalNumSgprs: 15
; NumVgprs: 9
; ScratchSize: 0
; MemoryBound: 0
; FloatMode: 240
; IeeeMode: 1
; LDSByteSize: 0 bytes/workgroup (compile time only)
; SGPRBlocks: 0
; VGPRBlocks: 0
; NumSGPRsForWavesPerEU: 15
; NumVGPRsForWavesPerEU: 9
; NamedBarCnt: 0
; Occupancy: 16
; WaveLimiterHint : 0
; COMPUTE_PGM_RSRC2:SCRATCH_EN: 0
; COMPUTE_PGM_RSRC2:USER_SGPR: 2
; COMPUTE_PGM_RSRC2:TRAP_HANDLER: 0
; COMPUTE_PGM_RSRC2:TGID_X_EN: 1
; COMPUTE_PGM_RSRC2:TGID_Y_EN: 0
; COMPUTE_PGM_RSRC2:TGID_Z_EN: 0
; COMPUTE_PGM_RSRC2:TIDIG_COMP_CNT: 0
	.text
	.p2alignl 7, 3214868480
	.fill 96, 4, 3214868480
	.section	.AMDGPU.gpr_maximums,"",@progbits
	.set amdgpu.max_num_vgpr, 0
	.set amdgpu.max_num_agpr, 0
	.set amdgpu.max_num_sgpr, 0
	.text
	.type	__hip_cuid_f57d742bae41339f,@object ; @__hip_cuid_f57d742bae41339f
	.section	.bss,"aw",@nobits
	.globl	__hip_cuid_f57d742bae41339f
__hip_cuid_f57d742bae41339f:
	.byte	0                               ; 0x0
	.size	__hip_cuid_f57d742bae41339f, 1

	.ident	"AMD clang version 22.0.0git (https://github.com/RadeonOpenCompute/llvm-project roc-7.2.4 26084 f58b06dce1f9c15707c5f808fd002e18c2accf7e)"
	.section	".note.GNU-stack","",@progbits
	.addrsig
	.addrsig_sym __hip_cuid_f57d742bae41339f
	.amdgpu_metadata
---
amdhsa.kernels:
  - .args:
      - .address_space:  global
        .offset:         0
        .size:           8
        .value_kind:     global_buffer
      - .address_space:  global
        .offset:         8
        .size:           8
        .value_kind:     global_buffer
      - .offset:         16
        .size:           4
        .value_kind:     by_value
      - .offset:         24
        .size:           4
        .value_kind:     hidden_block_count_x
      - .offset:         28
        .size:           4
        .value_kind:     hidden_block_count_y
      - .offset:         32
        .size:           4
        .value_kind:     hidden_block_count_z
      - .offset:         36
        .size:           2
        .value_kind:     hidden_group_size_x
      - .offset:         38
        .size:           2
        .value_kind:     hidden_group_size_y
      - .offset:         40
        .size:           2
        .value_kind:     hidden_group_size_z
      - .offset:         42
        .size:           2
        .value_kind:     hidden_remainder_x
      - .offset:         44
        .size:           2
        .value_kind:     hidden_remainder_y
      - .offset:         46
        .size:           2
        .value_kind:     hidden_remainder_z
      - .offset:         64
        .size:           8
        .value_kind:     hidden_global_offset_x
      - .offset:         72
        .size:           8
        .value_kind:     hidden_global_offset_y
      - .offset:         80
        .size:           8
        .value_kind:     hidden_global_offset_z
      - .offset:         88
        .size:           2
        .value_kind:     hidden_grid_dims
      - .offset:         144
        .size:           4
        .value_kind:     hidden_dynamic_lds_size
    .group_segment_fixed_size: 0
    .kernarg_segment_align: 8
    .kernarg_segment_size: 280
    .language:       OpenCL C
    .language_version:
      - 2
      - 0
    .max_flat_workgroup_size: 1024
    .name:           _Z18histogram256_blockPhPji
    .private_segment_fixed_size: 0
    .sgpr_count:     15
    .sgpr_spill_count: 0
    .symbol:         _Z18histogram256_blockPhPji.kd
    .uniform_work_group_size: 1
    .uses_dynamic_stack: false
    .vgpr_count:     9
    .vgpr_spill_count: 0
    .wavefront_size: 32
amdhsa.target:   amdgcn-amd-amdhsa--gfx1250
amdhsa.version:
  - 1
  - 2
...

	.end_amdgpu_metadata
